;; amdgpu-corpus repo=ROCm/rocFFT kind=compiled arch=gfx950 opt=O3
	.text
	.amdgcn_target "amdgcn-amd-amdhsa--gfx950"
	.amdhsa_code_object_version 6
	.protected	fft_rtc_fwd_len468_factors_13_9_4_wgs_52_tpt_52_sp_op_CI_CI_unitstride_sbrr_C2R_dirReg ; -- Begin function fft_rtc_fwd_len468_factors_13_9_4_wgs_52_tpt_52_sp_op_CI_CI_unitstride_sbrr_C2R_dirReg
	.globl	fft_rtc_fwd_len468_factors_13_9_4_wgs_52_tpt_52_sp_op_CI_CI_unitstride_sbrr_C2R_dirReg
	.p2align	8
	.type	fft_rtc_fwd_len468_factors_13_9_4_wgs_52_tpt_52_sp_op_CI_CI_unitstride_sbrr_C2R_dirReg,@function
fft_rtc_fwd_len468_factors_13_9_4_wgs_52_tpt_52_sp_op_CI_CI_unitstride_sbrr_C2R_dirReg: ; @fft_rtc_fwd_len468_factors_13_9_4_wgs_52_tpt_52_sp_op_CI_CI_unitstride_sbrr_C2R_dirReg
; %bb.0:
	s_load_dwordx4 s[4:7], s[0:1], 0x58
	s_load_dwordx4 s[8:11], s[0:1], 0x0
	;; [unrolled: 1-line block ×3, first 2 shown]
	v_mul_u32_u24_e32 v1, 0x4ed, v0
	v_add_u32_sdwa v6, s2, v1 dst_sel:DWORD dst_unused:UNUSED_PAD src0_sel:DWORD src1_sel:WORD_1
	v_mov_b32_e32 v4, 0
	s_waitcnt lgkmcnt(0)
	v_cmp_lt_u64_e64 s[2:3], s[10:11], 2
	v_mov_b32_e32 v7, v4
	s_and_b64 vcc, exec, s[2:3]
	v_mov_b64_e32 v[2:3], 0
	s_cbranch_vccnz .LBB0_8
; %bb.1:
	s_load_dwordx2 s[2:3], s[0:1], 0x10
	s_add_u32 s16, s14, 8
	s_addc_u32 s17, s15, 0
	s_add_u32 s18, s12, 8
	s_addc_u32 s19, s13, 0
	s_waitcnt lgkmcnt(0)
	s_add_u32 s20, s2, 8
	v_mov_b64_e32 v[2:3], 0
	s_addc_u32 s21, s3, 0
	s_mov_b64 s[22:23], 1
	v_mov_b64_e32 v[32:33], v[2:3]
.LBB0_2:                                ; =>This Inner Loop Header: Depth=1
	s_load_dwordx2 s[24:25], s[20:21], 0x0
                                        ; implicit-def: $vgpr34_vgpr35
	s_waitcnt lgkmcnt(0)
	v_or_b32_e32 v5, s25, v7
	v_cmp_ne_u64_e32 vcc, 0, v[4:5]
	s_and_saveexec_b64 s[2:3], vcc
	s_xor_b64 s[26:27], exec, s[2:3]
	s_cbranch_execz .LBB0_4
; %bb.3:                                ;   in Loop: Header=BB0_2 Depth=1
	v_cvt_f32_u32_e32 v1, s24
	v_cvt_f32_u32_e32 v5, s25
	s_sub_u32 s2, 0, s24
	s_subb_u32 s3, 0, s25
	v_fmac_f32_e32 v1, 0x4f800000, v5
	v_rcp_f32_e32 v1, v1
	s_nop 0
	v_mul_f32_e32 v1, 0x5f7ffffc, v1
	v_mul_f32_e32 v5, 0x2f800000, v1
	v_trunc_f32_e32 v5, v5
	v_fmac_f32_e32 v1, 0xcf800000, v5
	v_cvt_u32_f32_e32 v5, v5
	v_cvt_u32_f32_e32 v1, v1
	v_mul_lo_u32 v8, s2, v5
	v_mul_hi_u32 v10, s2, v1
	v_mul_lo_u32 v9, s3, v1
	v_add_u32_e32 v10, v10, v8
	v_mul_lo_u32 v12, s2, v1
	v_add_u32_e32 v13, v10, v9
	v_mul_hi_u32 v8, v1, v12
	v_mul_hi_u32 v11, v1, v13
	v_mul_lo_u32 v10, v1, v13
	v_mov_b32_e32 v9, v4
	v_lshl_add_u64 v[8:9], v[8:9], 0, v[10:11]
	v_mul_hi_u32 v11, v5, v12
	v_mul_lo_u32 v12, v5, v12
	v_add_co_u32_e32 v8, vcc, v8, v12
	v_mul_hi_u32 v10, v5, v13
	s_nop 0
	v_addc_co_u32_e32 v8, vcc, v9, v11, vcc
	v_mov_b32_e32 v9, v4
	s_nop 0
	v_addc_co_u32_e32 v11, vcc, 0, v10, vcc
	v_mul_lo_u32 v10, v5, v13
	v_lshl_add_u64 v[8:9], v[8:9], 0, v[10:11]
	v_add_co_u32_e32 v1, vcc, v1, v8
	v_mul_lo_u32 v10, s2, v1
	s_nop 0
	v_addc_co_u32_e32 v5, vcc, v5, v9, vcc
	v_mul_lo_u32 v8, s2, v5
	v_mul_hi_u32 v9, s2, v1
	v_add_u32_e32 v8, v9, v8
	v_mul_lo_u32 v9, s3, v1
	v_add_u32_e32 v12, v8, v9
	v_mul_hi_u32 v14, v5, v10
	v_mul_lo_u32 v15, v5, v10
	v_mul_hi_u32 v9, v1, v12
	v_mul_lo_u32 v8, v1, v12
	v_mul_hi_u32 v10, v1, v10
	v_mov_b32_e32 v11, v4
	v_lshl_add_u64 v[8:9], v[10:11], 0, v[8:9]
	v_add_co_u32_e32 v8, vcc, v8, v15
	v_mul_hi_u32 v13, v5, v12
	s_nop 0
	v_addc_co_u32_e32 v8, vcc, v9, v14, vcc
	v_mul_lo_u32 v10, v5, v12
	s_nop 0
	v_addc_co_u32_e32 v11, vcc, 0, v13, vcc
	v_mov_b32_e32 v9, v4
	v_lshl_add_u64 v[8:9], v[8:9], 0, v[10:11]
	v_add_co_u32_e32 v1, vcc, v1, v8
	v_mul_hi_u32 v10, v6, v1
	s_nop 0
	v_addc_co_u32_e32 v5, vcc, v5, v9, vcc
	v_mad_u64_u32 v[8:9], s[2:3], v6, v5, 0
	v_mov_b32_e32 v11, v4
	v_lshl_add_u64 v[8:9], v[10:11], 0, v[8:9]
	v_mad_u64_u32 v[12:13], s[2:3], v7, v1, 0
	v_add_co_u32_e32 v1, vcc, v8, v12
	v_mad_u64_u32 v[10:11], s[2:3], v7, v5, 0
	s_nop 0
	v_addc_co_u32_e32 v8, vcc, v9, v13, vcc
	v_mov_b32_e32 v9, v4
	s_nop 0
	v_addc_co_u32_e32 v11, vcc, 0, v11, vcc
	v_lshl_add_u64 v[8:9], v[8:9], 0, v[10:11]
	v_mul_lo_u32 v1, s25, v8
	v_mul_lo_u32 v5, s24, v9
	v_mad_u64_u32 v[10:11], s[2:3], s24, v8, 0
	v_add3_u32 v1, v11, v5, v1
	v_sub_u32_e32 v5, v7, v1
	v_mov_b32_e32 v11, s25
	v_sub_co_u32_e32 v14, vcc, v6, v10
	v_lshl_add_u64 v[12:13], v[8:9], 0, 1
	s_nop 0
	v_subb_co_u32_e64 v5, s[2:3], v5, v11, vcc
	v_subrev_co_u32_e64 v10, s[2:3], s24, v14
	v_subb_co_u32_e32 v1, vcc, v7, v1, vcc
	s_nop 0
	v_subbrev_co_u32_e64 v5, s[2:3], 0, v5, s[2:3]
	v_cmp_le_u32_e64 s[2:3], s25, v5
	v_cmp_le_u32_e32 vcc, s25, v1
	s_nop 0
	v_cndmask_b32_e64 v11, 0, -1, s[2:3]
	v_cmp_le_u32_e64 s[2:3], s24, v10
	s_nop 1
	v_cndmask_b32_e64 v10, 0, -1, s[2:3]
	v_cmp_eq_u32_e64 s[2:3], s25, v5
	s_nop 1
	v_cndmask_b32_e64 v5, v11, v10, s[2:3]
	v_lshl_add_u64 v[10:11], v[8:9], 0, 2
	v_cmp_ne_u32_e64 s[2:3], 0, v5
	s_nop 1
	v_cndmask_b32_e64 v5, v13, v11, s[2:3]
	v_cndmask_b32_e64 v11, 0, -1, vcc
	v_cmp_le_u32_e32 vcc, s24, v14
	s_nop 1
	v_cndmask_b32_e64 v13, 0, -1, vcc
	v_cmp_eq_u32_e32 vcc, s25, v1
	s_nop 1
	v_cndmask_b32_e32 v1, v11, v13, vcc
	v_cmp_ne_u32_e32 vcc, 0, v1
	v_cndmask_b32_e64 v1, v12, v10, s[2:3]
	s_nop 0
	v_cndmask_b32_e32 v35, v9, v5, vcc
	v_cndmask_b32_e32 v34, v8, v1, vcc
.LBB0_4:                                ;   in Loop: Header=BB0_2 Depth=1
	s_andn2_saveexec_b64 s[2:3], s[26:27]
	s_cbranch_execz .LBB0_6
; %bb.5:                                ;   in Loop: Header=BB0_2 Depth=1
	v_cvt_f32_u32_e32 v1, s24
	s_sub_i32 s26, 0, s24
	v_mov_b32_e32 v35, v4
	v_rcp_iflag_f32_e32 v1, v1
	s_nop 0
	v_mul_f32_e32 v1, 0x4f7ffffe, v1
	v_cvt_u32_f32_e32 v1, v1
	v_mul_lo_u32 v5, s26, v1
	v_mul_hi_u32 v5, v1, v5
	v_add_u32_e32 v1, v1, v5
	v_mul_hi_u32 v1, v6, v1
	v_mul_lo_u32 v5, v1, s24
	v_sub_u32_e32 v5, v6, v5
	v_add_u32_e32 v8, 1, v1
	v_subrev_u32_e32 v9, s24, v5
	v_cmp_le_u32_e32 vcc, s24, v5
	s_nop 1
	v_cndmask_b32_e32 v5, v5, v9, vcc
	v_cndmask_b32_e32 v1, v1, v8, vcc
	v_add_u32_e32 v8, 1, v1
	v_cmp_le_u32_e32 vcc, s24, v5
	s_nop 1
	v_cndmask_b32_e32 v34, v1, v8, vcc
.LBB0_6:                                ;   in Loop: Header=BB0_2 Depth=1
	s_or_b64 exec, exec, s[2:3]
	v_mad_u64_u32 v[8:9], s[2:3], v34, s24, 0
	s_load_dwordx2 s[2:3], s[18:19], 0x0
	v_mul_lo_u32 v1, v35, s24
	v_mul_lo_u32 v5, v34, s25
	s_load_dwordx2 s[24:25], s[16:17], 0x0
	s_add_u32 s22, s22, 1
	v_add3_u32 v1, v9, v5, v1
	v_sub_co_u32_e32 v5, vcc, v6, v8
	s_addc_u32 s23, s23, 0
	s_nop 0
	v_subb_co_u32_e32 v1, vcc, v7, v1, vcc
	s_add_u32 s16, s16, 8
	s_waitcnt lgkmcnt(0)
	v_mul_lo_u32 v6, s2, v1
	v_mul_lo_u32 v7, s3, v5
	v_mad_u64_u32 v[2:3], s[2:3], s2, v5, v[2:3]
	s_addc_u32 s17, s17, 0
	v_add3_u32 v3, v7, v3, v6
	v_mul_lo_u32 v1, s24, v1
	v_mul_lo_u32 v6, s25, v5
	v_mad_u64_u32 v[32:33], s[2:3], s24, v5, v[32:33]
	s_add_u32 s18, s18, 8
	v_add3_u32 v33, v6, v33, v1
	s_addc_u32 s19, s19, 0
	v_mov_b64_e32 v[6:7], s[10:11]
	s_add_u32 s20, s20, 8
	v_cmp_ge_u64_e32 vcc, s[22:23], v[6:7]
	s_addc_u32 s21, s21, 0
	s_cbranch_vccnz .LBB0_9
; %bb.7:                                ;   in Loop: Header=BB0_2 Depth=1
	v_mov_b64_e32 v[6:7], v[34:35]
	s_branch .LBB0_2
.LBB0_8:
	v_mov_b64_e32 v[32:33], v[2:3]
	v_mov_b64_e32 v[34:35], v[6:7]
.LBB0_9:
	s_load_dwordx2 s[0:1], s[0:1], 0x28
	s_lshl_b64 s[16:17], s[10:11], 3
	s_add_u32 s2, s14, s16
	s_addc_u32 s3, s15, s17
                                        ; implicit-def: $vgpr36
	s_waitcnt lgkmcnt(0)
	v_cmp_gt_u64_e32 vcc, s[0:1], v[34:35]
	v_cmp_le_u64_e64 s[0:1], s[0:1], v[34:35]
	s_and_saveexec_b64 s[10:11], s[0:1]
	s_xor_b64 s[0:1], exec, s[10:11]
; %bb.10:
	s_mov_b32 s10, 0x4ec4ec5
	v_mul_hi_u32 v1, v0, s10
	v_mul_u32_u24_e32 v1, 52, v1
	v_sub_u32_e32 v36, v0, v1
                                        ; implicit-def: $vgpr0
                                        ; implicit-def: $vgpr2_vgpr3
; %bb.11:
	s_or_saveexec_b64 s[10:11], s[0:1]
	s_load_dwordx2 s[2:3], s[2:3], 0x0
	s_xor_b64 exec, exec, s[10:11]
	s_cbranch_execz .LBB0_15
; %bb.12:
	s_add_u32 s0, s12, s16
	s_addc_u32 s1, s13, s17
	s_load_dwordx2 s[0:1], s[0:1], 0x0
	s_mov_b32 s12, 0x4ec4ec5
	s_waitcnt lgkmcnt(0)
	v_mul_lo_u32 v1, s1, v34
	v_mul_lo_u32 v6, s0, v35
	v_mad_u64_u32 v[4:5], s[0:1], s0, v34, 0
	v_add3_u32 v5, v5, v6, v1
	v_mul_hi_u32 v1, v0, s12
	v_mul_u32_u24_e32 v1, 52, v1
	v_sub_u32_e32 v36, v0, v1
	v_lshl_add_u64 v[0:1], v[4:5], 3, s[4:5]
	v_lshl_add_u64 v[0:1], v[2:3], 3, v[0:1]
	v_lshlrev_b32_e32 v2, 3, v36
	v_mov_b32_e32 v3, 0
	v_lshl_add_u64 v[4:5], v[0:1], 0, v[2:3]
	global_load_dwordx2 v[6:7], v[4:5], off
	global_load_dwordx2 v[8:9], v[4:5], off offset:416
	global_load_dwordx2 v[10:11], v[4:5], off offset:832
	;; [unrolled: 1-line block ×8, first 2 shown]
	v_add_u32_e32 v2, 0, v2
	v_cmp_eq_u32_e64 s[0:1], 51, v36
	v_add_u32_e32 v4, 0x400, v2
	v_add_u32_e32 v5, 0x800, v2
	s_waitcnt vmcnt(7)
	ds_write2_b64 v2, v[6:7], v[8:9] offset1:52
	s_waitcnt vmcnt(5)
	ds_write2_b64 v2, v[10:11], v[12:13] offset0:104 offset1:156
	s_waitcnt vmcnt(3)
	ds_write2_b64 v4, v[14:15], v[16:17] offset0:80 offset1:132
	;; [unrolled: 2-line block ×3, first 2 shown]
	s_waitcnt vmcnt(0)
	ds_write_b64 v2, v[22:23] offset:3328
	s_and_saveexec_b64 s[4:5], s[0:1]
	s_cbranch_execz .LBB0_14
; %bb.13:
	global_load_dwordx2 v[0:1], v[0:1], off offset:3744
	v_mov_b32_e32 v36, 51
	s_waitcnt vmcnt(0)
	ds_write_b64 v3, v[0:1] offset:3744
.LBB0_14:
	s_or_b64 exec, exec, s[4:5]
.LBB0_15:
	s_or_b64 exec, exec, s[10:11]
	v_lshlrev_b32_e32 v0, 3, v36
	v_add_u32_e32 v134, 0, v0
	s_waitcnt lgkmcnt(0)
	; wave barrier
	s_waitcnt lgkmcnt(0)
	v_sub_u32_e32 v4, 0, v0
	ds_read_b32 v1, v134
	ds_read_b32 v2, v4 offset:3744
	v_cmp_ne_u32_e64 s[0:1], 0, v36
	s_waitcnt lgkmcnt(0)
	v_add_f32_e32 v0, v2, v1
	v_sub_f32_e32 v1, v1, v2
                                        ; implicit-def: $vgpr2_vgpr3
	s_and_saveexec_b64 s[4:5], s[0:1]
	s_xor_b64 s[0:1], exec, s[4:5]
	s_cbranch_execz .LBB0_17
; %bb.16:
	v_mov_b32_e32 v37, 0
	v_lshl_add_u64 v[2:3], v[36:37], 3, s[8:9]
	global_load_dwordx2 v[6:7], v[2:3], off offset:3640
	ds_read_b32 v5, v4 offset:3748
	ds_read_b32 v11, v134 offset:4
	v_mov_b32_e32 v8, v1
	v_mov_b32_e32 v10, v0
	;; [unrolled: 1-line block ×3, first 2 shown]
	v_mov_b64_e32 v[2:3], v[36:37]
	s_waitcnt lgkmcnt(0)
	v_add_f32_e32 v9, v5, v11
	v_sub_f32_e32 v11, v11, v5
	v_mov_b32_e32 v12, v9
	s_waitcnt vmcnt(0)
	v_pk_mul_f32 v[14:15], v[8:9], v[6:7] op_sel:[0,1]
	v_pk_fma_f32 v[8:9], v[8:9], v[6:7], v[10:11] op_sel:[0,1,0]
	v_mov_b32_e32 v1, v15
	v_mov_b32_e32 v15, v11
	v_pk_fma_f32 v[16:17], v[6:7], v[12:13], v[8:9] neg_lo:[1,0,0] neg_hi:[1,0,0]
	v_pk_fma_f32 v[8:9], v[6:7], v[12:13], v[8:9] op_sel_hi:[0,1,1]
	v_pk_add_f32 v[0:1], v[0:1], v[14:15] neg_lo:[0,1] neg_hi:[0,1]
	v_mov_b32_e32 v17, v9
	v_pk_fma_f32 v[0:1], v[6:7], v[12:13], v[0:1] op_sel_hi:[0,1,1]
	ds_write_b64 v4, v[0:1] offset:3744
	v_mov_b64_e32 v[0:1], v[16:17]
.LBB0_17:
	s_andn2_saveexec_b64 s[0:1], s[0:1]
	s_cbranch_execz .LBB0_19
; %bb.18:
	v_mov_b32_e32 v5, 0
	ds_read_b64 v[2:3], v5 offset:1872
	s_mov_b32 s4, 2.0
	s_mov_b32 s5, -2.0
	s_waitcnt lgkmcnt(0)
	v_pk_mul_f32 v[2:3], v[2:3], s[4:5]
	ds_write_b64 v5, v[2:3] offset:1872
	v_mov_b64_e32 v[2:3], 0
.LBB0_19:
	s_or_b64 exec, exec, s[0:1]
	s_add_u32 s0, s8, 0xe38
	s_addc_u32 s1, s9, 0
	v_lshl_add_u64 v[2:3], v[2:3], 3, s[0:1]
	global_load_dwordx2 v[6:7], v[2:3], off offset:416
	global_load_dwordx2 v[8:9], v[2:3], off offset:832
	;; [unrolled: 1-line block ×3, first 2 shown]
	ds_write_b64 v134, v[0:1]
	ds_read_b64 v[0:1], v4 offset:3328
	ds_read_b64 v[12:13], v134 offset:416
	v_cmp_gt_u32_e64 s[0:1], 26, v36
	s_waitcnt lgkmcnt(0)
	v_pk_add_f32 v[14:15], v[12:13], v[0:1]
	v_pk_add_f32 v[0:1], v[12:13], v[0:1] neg_lo:[0,1] neg_hi:[0,1]
	v_mov_b32_e32 v12, v15
	v_mov_b32_e32 v13, v0
	;; [unrolled: 1-line block ×3, first 2 shown]
	s_waitcnt vmcnt(2)
	v_pk_mul_f32 v[16:17], v[12:13], v[6:7] op_sel:[0,1]
	s_nop 0
	v_pk_add_f32 v[18:19], v[14:15], v[16:17] op_sel:[0,1] op_sel_hi:[1,0]
	v_mov_b32_e32 v15, v16
	v_mov_b32_e32 v0, v17
	v_pk_fma_f32 v[16:17], v[6:7], v[12:13], v[18:19] neg_lo:[1,0,0] neg_hi:[1,0,0]
	v_pk_fma_f32 v[18:19], v[6:7], v[12:13], v[18:19] op_sel_hi:[0,1,1]
	v_pk_add_f32 v[0:1], v[14:15], v[0:1] neg_lo:[0,1] neg_hi:[0,1]
	v_mov_b32_e32 v17, v19
	v_pk_fma_f32 v[0:1], v[6:7], v[12:13], v[0:1] op_sel_hi:[0,1,1]
	ds_write_b64 v134, v[16:17] offset:416
	ds_write_b64 v4, v[0:1] offset:3328
	ds_read_b64 v[0:1], v4 offset:2912
	ds_read_b64 v[6:7], v134 offset:832
	s_waitcnt lgkmcnt(0)
	v_pk_add_f32 v[12:13], v[6:7], v[0:1]
	v_pk_add_f32 v[0:1], v[6:7], v[0:1] neg_lo:[0,1] neg_hi:[0,1]
	v_mov_b32_e32 v6, v13
	v_mov_b32_e32 v7, v0
	;; [unrolled: 1-line block ×3, first 2 shown]
	s_waitcnt vmcnt(1)
	v_pk_mul_f32 v[14:15], v[6:7], v[8:9] op_sel:[0,1]
	s_nop 0
	v_pk_add_f32 v[16:17], v[12:13], v[14:15] op_sel:[0,1] op_sel_hi:[1,0]
	v_mov_b32_e32 v13, v14
	v_mov_b32_e32 v0, v15
	v_pk_fma_f32 v[14:15], v[8:9], v[6:7], v[16:17] neg_lo:[1,0,0] neg_hi:[1,0,0]
	v_pk_fma_f32 v[16:17], v[8:9], v[6:7], v[16:17] op_sel_hi:[0,1,1]
	v_pk_add_f32 v[0:1], v[12:13], v[0:1] neg_lo:[0,1] neg_hi:[0,1]
	v_mov_b32_e32 v15, v17
	v_pk_fma_f32 v[0:1], v[8:9], v[6:7], v[0:1] op_sel_hi:[0,1,1]
	ds_write_b64 v134, v[14:15] offset:832
	ds_write_b64 v4, v[0:1] offset:2912
	ds_read_b64 v[0:1], v4 offset:2496
	ds_read_b64 v[6:7], v134 offset:1248
	s_waitcnt lgkmcnt(0)
	v_pk_add_f32 v[8:9], v[6:7], v[0:1]
	v_pk_add_f32 v[0:1], v[6:7], v[0:1] neg_lo:[0,1] neg_hi:[0,1]
	v_mov_b32_e32 v6, v9
	v_mov_b32_e32 v7, v0
	;; [unrolled: 1-line block ×3, first 2 shown]
	s_waitcnt vmcnt(0)
	v_pk_mul_f32 v[12:13], v[6:7], v[10:11] op_sel:[0,1]
	s_nop 0
	v_pk_add_f32 v[14:15], v[8:9], v[12:13] op_sel:[0,1] op_sel_hi:[1,0]
	v_mov_b32_e32 v9, v12
	v_mov_b32_e32 v0, v13
	v_pk_fma_f32 v[12:13], v[10:11], v[6:7], v[14:15] neg_lo:[1,0,0] neg_hi:[1,0,0]
	v_pk_fma_f32 v[14:15], v[10:11], v[6:7], v[14:15] op_sel_hi:[0,1,1]
	v_pk_add_f32 v[0:1], v[8:9], v[0:1] neg_lo:[0,1] neg_hi:[0,1]
	v_mov_b32_e32 v13, v15
	v_pk_fma_f32 v[0:1], v[10:11], v[6:7], v[0:1] op_sel_hi:[0,1,1]
	ds_write_b64 v134, v[12:13] offset:1248
	ds_write_b64 v4, v[0:1] offset:2496
	s_and_saveexec_b64 s[4:5], s[0:1]
	s_cbranch_execz .LBB0_21
; %bb.20:
	global_load_dwordx2 v[0:1], v[2:3], off offset:1664
	ds_read_b64 v[2:3], v4 offset:2080
	ds_read_b64 v[6:7], v134 offset:1664
	s_waitcnt lgkmcnt(0)
	v_pk_add_f32 v[8:9], v[6:7], v[2:3]
	v_pk_add_f32 v[2:3], v[6:7], v[2:3] neg_lo:[0,1] neg_hi:[0,1]
	v_mov_b32_e32 v6, v9
	v_mov_b32_e32 v7, v2
	v_mov_b32_e32 v9, v3
	s_waitcnt vmcnt(0)
	v_pk_mul_f32 v[10:11], v[6:7], v[0:1] op_sel:[0,1]
	s_nop 0
	v_pk_add_f32 v[12:13], v[8:9], v[10:11] op_sel:[0,1] op_sel_hi:[1,0]
	v_mov_b32_e32 v9, v10
	v_mov_b32_e32 v2, v11
	v_pk_fma_f32 v[10:11], v[0:1], v[6:7], v[12:13] neg_lo:[1,0,0] neg_hi:[1,0,0]
	v_pk_fma_f32 v[12:13], v[0:1], v[6:7], v[12:13] op_sel_hi:[0,1,1]
	v_pk_add_f32 v[2:3], v[8:9], v[2:3] neg_lo:[0,1] neg_hi:[0,1]
	v_mov_b32_e32 v11, v13
	v_pk_fma_f32 v[0:1], v[0:1], v[6:7], v[2:3] op_sel_hi:[0,1,1]
	ds_write_b64 v134, v[10:11] offset:1664
	ds_write_b64 v4, v[0:1] offset:2080
.LBB0_21:
	s_or_b64 exec, exec, s[4:5]
	v_add_u32_e32 v37, 0x800, v134
	s_waitcnt lgkmcnt(0)
	; wave barrier
	s_waitcnt lgkmcnt(0)
	s_waitcnt lgkmcnt(0)
	; wave barrier
	s_waitcnt lgkmcnt(0)
	ds_read2_b64 v[8:11], v134 offset1:36
	ds_read2_b64 v[12:15], v134 offset0:72 offset1:108
	ds_read_b64 v[80:81], v134 offset:3456
	ds_read2_b64 v[24:27], v134 offset0:144 offset1:180
	ds_read2_b64 v[20:23], v37 offset0:32 offset1:68
	;; [unrolled: 1-line block ×3, first 2 shown]
	s_mov_b32 s38, 0xbf7e222b
	s_mov_b32 s4, 0x3df6dbef
	s_waitcnt lgkmcnt(3)
	v_pk_add_f32 v[38:39], v[10:11], v[80:81] neg_lo:[0,1] neg_hi:[0,1]
	v_pk_add_f32 v[4:5], v[80:81], v[10:11]
	v_pk_mul_f32 v[0:1], v[38:39], s[38:39] op_sel_hi:[1,0]
	s_waitcnt lgkmcnt(0)
	v_pk_add_f32 v[42:43], v[12:13], v[18:19] neg_lo:[0,1] neg_hi:[0,1]
	s_mov_b32 s14, 0xbe750f2a
	v_pk_fma_f32 v[60:61], v[4:5], s[4:5], v[0:1] op_sel:[0,0,1] op_sel_hi:[1,0,0] neg_lo:[0,0,1] neg_hi:[0,0,1]
	v_pk_fma_f32 v[62:63], v[4:5], s[4:5], v[0:1] op_sel:[0,0,1] op_sel_hi:[1,0,0]
	v_pk_add_f32 v[40:41], v[18:19], v[12:13]
	s_mov_b32 s12, 0xbf788fa5
	v_pk_mul_f32 v[2:3], v[42:43], s[14:15] op_sel_hi:[1,0]
	v_mov_b32_e32 v0, v62
	v_mov_b32_e32 v1, v61
	v_pk_fma_f32 v[64:65], v[40:41], s[12:13], v[2:3] op_sel:[0,0,1] op_sel_hi:[1,0,0] neg_lo:[0,0,1] neg_hi:[0,0,1]
	v_pk_fma_f32 v[66:67], v[40:41], s[12:13], v[2:3] op_sel:[0,0,1] op_sel_hi:[1,0,0]
	v_pk_add_f32 v[0:1], v[8:9], v[0:1]
	v_mov_b32_e32 v2, v66
	v_mov_b32_e32 v3, v65
	v_pk_add_f32 v[46:47], v[14:15], v[16:17] neg_lo:[0,1] neg_hi:[0,1]
	s_mov_b32 s0, 0x3f6f5d39
	v_pk_add_f32 v[0:1], v[2:3], v[0:1]
	v_pk_add_f32 v[44:45], v[16:17], v[14:15]
	s_mov_b32 s10, 0xbeb58ec6
	v_pk_mul_f32 v[2:3], v[46:47], s[0:1] op_sel_hi:[1,0]
	v_pk_add_f32 v[50:51], v[24:25], v[22:23] neg_lo:[0,1] neg_hi:[0,1]
	v_pk_fma_f32 v[68:69], v[44:45], s[10:11], v[2:3] op_sel:[0,0,1] op_sel_hi:[1,0,0] neg_lo:[0,0,1] neg_hi:[0,0,1]
	v_pk_fma_f32 v[70:71], v[44:45], s[10:11], v[2:3] op_sel:[0,0,1] op_sel_hi:[1,0,0]
	v_mov_b32_e32 v3, v69
	v_mov_b32_e32 v2, v70
	s_mov_b32 s20, 0x3eedf032
	v_pk_add_f32 v[0:1], v[2:3], v[0:1]
	v_pk_add_f32 v[48:49], v[22:23], v[24:25]
	s_mov_b32 s18, 0x3f62ad3f
	v_pk_mul_f32 v[2:3], v[50:51], s[20:21] op_sel_hi:[1,0]
	s_mov_b32 s30, 0xbf52af12
	v_pk_fma_f32 v[72:73], v[48:49], s[18:19], v[2:3] op_sel:[0,0,1] op_sel_hi:[1,0,0] neg_lo:[0,0,1] neg_hi:[0,0,1]
	v_pk_fma_f32 v[74:75], v[48:49], s[18:19], v[2:3] op_sel:[0,0,1] op_sel_hi:[1,0,0]
	v_mov_b32_e32 v3, v73
	v_mov_b32_e32 v2, v74
	v_pk_add_f32 v[54:55], v[26:27], v[20:21] neg_lo:[0,1] neg_hi:[0,1]
	v_pk_add_f32 v[0:1], v[2:3], v[0:1]
	s_mov_b32 s16, 0x3f116cb1
	v_pk_add_f32 v[52:53], v[20:21], v[26:27]
	v_pk_mul_f32 v[2:3], v[54:55], s[30:31] op_sel_hi:[1,0]
	s_mov_b32 s22, 0xbf6f5d39
	v_pk_fma_f32 v[76:77], v[52:53], s[16:17], v[2:3] op_sel:[0,0,1] op_sel_hi:[1,0,0] neg_lo:[0,0,1] neg_hi:[0,0,1]
	v_pk_fma_f32 v[78:79], v[52:53], s[16:17], v[2:3] op_sel:[0,0,1] op_sel_hi:[1,0,0]
	v_mov_b32_e32 v3, v77
	v_mov_b32_e32 v2, v78
	v_pk_add_f32 v[0:1], v[2:3], v[0:1]
	v_pk_mul_f32 v[2:3], v[38:39], s[30:31] op_sel_hi:[1,0]
	v_pk_mul_f32 v[6:7], v[42:43], s[22:23] op_sel_hi:[1,0]
	v_pk_fma_f32 v[82:83], v[4:5], s[16:17], v[2:3] op_sel:[0,0,1] op_sel_hi:[1,0,0] neg_lo:[0,0,1] neg_hi:[0,0,1]
	v_pk_fma_f32 v[84:85], v[4:5], s[16:17], v[2:3] op_sel:[0,0,1] op_sel_hi:[1,0,0]
	v_mov_b32_e32 v3, v83
	v_mov_b32_e32 v2, v84
	v_pk_fma_f32 v[86:87], v[40:41], s[10:11], v[6:7] op_sel:[0,0,1] op_sel_hi:[1,0,0] neg_lo:[0,0,1] neg_hi:[0,0,1]
	v_pk_fma_f32 v[88:89], v[40:41], s[10:11], v[6:7] op_sel:[0,0,1] op_sel_hi:[1,0,0]
	v_pk_add_f32 v[2:3], v[8:9], v[2:3]
	v_mov_b32_e32 v6, v88
	v_mov_b32_e32 v7, v87
	v_pk_add_f32 v[2:3], v[6:7], v[2:3]
	v_pk_mul_f32 v[6:7], v[46:47], s[14:15] op_sel_hi:[1,0]
	s_mov_b32 s0, 0x3f29c268
	v_pk_fma_f32 v[90:91], v[44:45], s[12:13], v[6:7] op_sel:[0,0,1] op_sel_hi:[1,0,0] neg_lo:[0,0,1] neg_hi:[0,0,1]
	v_pk_fma_f32 v[92:93], v[44:45], s[12:13], v[6:7] op_sel:[0,0,1] op_sel_hi:[1,0,0]
	v_mov_b32_e32 v7, v91
	v_mov_b32_e32 v6, v92
	v_pk_add_f32 v[2:3], v[6:7], v[2:3]
	s_mov_b32 s28, 0xbf3f9e67
	v_pk_mul_f32 v[6:7], v[50:51], s[0:1] op_sel_hi:[1,0]
	ds_read2_b64 v[28:31], v134 offset0:216 offset1:252
	v_pk_fma_f32 v[98:99], v[48:49], s[28:29], v[6:7] op_sel:[0,0,1] op_sel_hi:[1,0,0] neg_lo:[0,0,1] neg_hi:[0,0,1]
	v_pk_fma_f32 v[100:101], v[48:49], s[28:29], v[6:7] op_sel:[0,0,1] op_sel_hi:[1,0,0]
	v_mov_b32_e32 v7, v99
	v_mov_b32_e32 v6, v100
	s_mov_b32 s26, 0x3f7e222b
	v_pk_add_f32 v[2:3], v[6:7], v[2:3]
	v_pk_mul_f32 v[6:7], v[54:55], s[26:27] op_sel_hi:[1,0]
	s_waitcnt lgkmcnt(0)
	v_pk_add_f32 v[58:59], v[28:29], v[30:31] neg_lo:[0,1] neg_hi:[0,1]
	v_pk_fma_f32 v[110:111], v[52:53], s[4:5], v[6:7] op_sel:[0,0,1] op_sel_hi:[1,0,0] neg_lo:[0,0,1] neg_hi:[0,0,1]
	v_pk_fma_f32 v[120:121], v[52:53], s[4:5], v[6:7] op_sel:[0,0,1] op_sel_hi:[1,0,0]
	v_mov_b32_e32 v7, v111
	v_mov_b32_e32 v6, v120
	v_pk_add_f32 v[2:3], v[6:7], v[2:3]
	v_pk_add_f32 v[56:57], v[30:31], v[28:29]
	v_pk_mul_f32 v[6:7], v[58:59], s[20:21] op_sel_hi:[1,0]
	s_mov_b32 s34, 0xbf29c268
	v_pk_fma_f32 v[126:127], v[56:57], s[18:19], v[6:7] op_sel:[0,0,1] op_sel_hi:[1,0,0] neg_lo:[0,0,1] neg_hi:[0,0,1]
	v_pk_fma_f32 v[128:129], v[56:57], s[18:19], v[6:7] op_sel:[0,0,1] op_sel_hi:[1,0,0]
	v_mov_b32_e32 v7, v127
	v_mov_b32_e32 v6, v128
	v_pk_add_f32 v[2:3], v[6:7], v[2:3]
	v_pk_mul_f32 v[6:7], v[58:59], s[34:35] op_sel_hi:[1,0]
	v_pk_mul_f32 v[104:105], v[42:43], s[0:1] op_sel_hi:[1,0]
	v_pk_fma_f32 v[106:107], v[56:57], s[28:29], v[6:7] op_sel:[0,0,1] op_sel_hi:[1,0,0] neg_lo:[0,0,1] neg_hi:[0,0,1]
	v_pk_fma_f32 v[108:109], v[56:57], s[28:29], v[6:7] op_sel:[0,0,1] op_sel_hi:[1,0,0]
	v_mov_b32_e32 v7, v107
	v_mov_b32_e32 v6, v108
	v_pk_add_f32 v[0:1], v[6:7], v[0:1]
	v_pk_mul_f32 v[6:7], v[38:39], s[22:23] op_sel_hi:[1,0]
	v_pk_fma_f32 v[102:103], v[40:41], s[28:29], v[104:105] op_sel:[0,0,1] op_sel_hi:[1,0,0]
	v_pk_fma_f32 v[94:95], v[4:5], s[10:11], v[6:7] op_sel:[0,0,1] op_sel_hi:[1,0,0]
	v_pk_fma_f32 v[96:97], v[4:5], s[10:11], v[6:7] op_sel:[0,0,1] op_sel_hi:[1,0,0] neg_lo:[0,0,1] neg_hi:[0,0,1]
	v_mov_b32_e32 v6, v94
	v_mov_b32_e32 v7, v97
	v_pk_fma_f32 v[104:105], v[40:41], s[28:29], v[104:105] op_sel:[0,0,1] op_sel_hi:[1,0,0] neg_lo:[0,0,1] neg_hi:[0,0,1]
	v_pk_add_f32 v[6:7], v[8:9], v[6:7]
	v_mov_b32_e32 v112, v102
	v_mov_b32_e32 v113, v105
	v_pk_mul_f32 v[114:115], v[46:47], s[20:21] op_sel_hi:[1,0]
	v_pk_add_f32 v[6:7], v[112:113], v[6:7]
	v_pk_fma_f32 v[112:113], v[44:45], s[18:19], v[114:115] op_sel:[0,0,1] op_sel_hi:[1,0,0]
	v_pk_fma_f32 v[114:115], v[44:45], s[18:19], v[114:115] op_sel:[0,0,1] op_sel_hi:[1,0,0] neg_lo:[0,0,1] neg_hi:[0,0,1]
	v_mov_b32_e32 v116, v112
	v_mov_b32_e32 v117, v115
	v_pk_mul_f32 v[118:119], v[50:51], s[38:39] op_sel_hi:[1,0]
	v_pk_add_f32 v[6:7], v[116:117], v[6:7]
	v_pk_fma_f32 v[116:117], v[48:49], s[4:5], v[118:119] op_sel:[0,0,1] op_sel_hi:[1,0,0]
	v_pk_fma_f32 v[118:119], v[48:49], s[4:5], v[118:119] op_sel:[0,0,1] op_sel_hi:[1,0,0] neg_lo:[0,0,1] neg_hi:[0,0,1]
	s_mov_b32 s40, 0x3e750f2a
	v_mov_b32_e32 v122, v116
	v_mov_b32_e32 v123, v119
	v_pk_mul_f32 v[124:125], v[54:55], s[40:41] op_sel_hi:[1,0]
	v_pk_add_f32 v[6:7], v[122:123], v[6:7]
	v_pk_fma_f32 v[122:123], v[52:53], s[12:13], v[124:125] op_sel:[0,0,1] op_sel_hi:[1,0,0]
	v_pk_fma_f32 v[124:125], v[52:53], s[12:13], v[124:125] op_sel:[0,0,1] op_sel_hi:[1,0,0] neg_lo:[0,0,1] neg_hi:[0,0,1]
	s_mov_b32 s36, 0x3f52af12
	v_mov_b32_e32 v130, v122
	v_mov_b32_e32 v131, v125
	v_pk_mul_f32 v[132:133], v[58:59], s[36:37] op_sel_hi:[1,0]
	v_pk_add_f32 v[6:7], v[130:131], v[6:7]
	v_pk_fma_f32 v[130:131], v[56:57], s[16:17], v[132:133] op_sel:[0,0,1] op_sel_hi:[1,0,0]
	v_pk_fma_f32 v[132:133], v[56:57], s[16:17], v[132:133] op_sel:[0,0,1] op_sel_hi:[1,0,0] neg_lo:[0,0,1] neg_hi:[0,0,1]
	v_mov_b32_e32 v136, v130
	v_mov_b32_e32 v137, v133
	v_pk_add_f32 v[6:7], v[136:137], v[6:7]
	v_cmp_gt_u32_e64 s[0:1], 36, v36
	s_waitcnt lgkmcnt(0)
	; wave barrier
	s_and_saveexec_b64 s[24:25], s[0:1]
	s_cbranch_execz .LBB0_23
; %bb.22:
	v_pk_add_f32 v[10:11], v[8:9], v[10:11]
	s_mov_b32 s0, 0xbeedf032
	v_pk_add_f32 v[10:11], v[10:11], v[12:13]
	v_pk_mul_f32 v[12:13], v[38:39], s[0:1] op_sel_hi:[1,0]
	v_pk_add_f32 v[10:11], v[10:11], v[14:15]
	s_movk_i32 s0, 0x60
	v_pk_add_f32 v[10:11], v[10:11], v[24:25]
	v_mov_b32_e32 v83, v85
	v_pk_add_f32 v[10:11], v[10:11], v[26:27]
	v_mov_b32_e32 v61, v63
	;; [unrolled: 2-line block ×6, first 2 shown]
	v_pk_add_f32 v[10:11], v[10:11], v[16:17]
	v_pk_mul_f32 v[16:17], v[42:43], s[30:31] op_sel_hi:[1,0]
	v_pk_add_f32 v[10:11], v[10:11], v[18:19]
	v_mov_b32_e32 v99, v101
	v_pk_add_f32 v[22:23], v[10:11], v[80:81]
	v_pk_fma_f32 v[10:11], v[4:5], s[18:19], v[12:13] op_sel:[0,0,1] op_sel_hi:[1,0,0] neg_lo:[0,0,1] neg_hi:[0,0,1]
	v_pk_fma_f32 v[12:13], v[4:5], s[18:19], v[12:13] op_sel:[0,0,1] op_sel_hi:[1,0,0]
	v_mov_b32_e32 v14, v10
	v_mov_b32_e32 v15, v13
	v_pk_add_f32 v[18:19], v[8:9], v[14:15]
	v_pk_fma_f32 v[14:15], v[40:41], s[16:17], v[16:17] op_sel:[0,0,1] op_sel_hi:[1,0,0] neg_lo:[0,0,1] neg_hi:[0,0,1]
	v_pk_fma_f32 v[16:17], v[40:41], s[16:17], v[16:17] op_sel:[0,0,1] op_sel_hi:[1,0,0]
	v_mov_b32_e32 v20, v14
	v_mov_b32_e32 v21, v17
	v_pk_add_f32 v[24:25], v[20:21], v[18:19]
	v_pk_mul_f32 v[20:21], v[46:47], s[38:39] op_sel_hi:[1,0]
	v_mad_u32_u24 v10, v36, s0, v134
	v_pk_fma_f32 v[18:19], v[44:45], s[4:5], v[20:21] op_sel:[0,0,1] op_sel_hi:[1,0,0] neg_lo:[0,0,1] neg_hi:[0,0,1]
	v_pk_fma_f32 v[20:21], v[44:45], s[4:5], v[20:21] op_sel:[0,0,1] op_sel_hi:[1,0,0]
	v_mov_b32_e32 v26, v18
	v_mov_b32_e32 v27, v21
	v_pk_add_f32 v[24:25], v[26:27], v[24:25]
	v_pk_mul_f32 v[26:27], v[50:51], s[22:23] op_sel_hi:[1,0]
	v_mov_b32_e32 v73, v75
	v_pk_fma_f32 v[28:29], v[48:49], s[10:11], v[26:27] op_sel:[0,0,1] op_sel_hi:[1,0,0] neg_lo:[0,0,1] neg_hi:[0,0,1]
	v_pk_fma_f32 v[26:27], v[48:49], s[10:11], v[26:27] op_sel:[0,0,1] op_sel_hi:[1,0,0]
	v_mov_b32_e32 v30, v28
	v_mov_b32_e32 v31, v27
	v_pk_add_f32 v[24:25], v[30:31], v[24:25]
	v_pk_mul_f32 v[30:31], v[54:55], s[34:35] op_sel_hi:[1,0]
	v_mov_b32_e32 v111, v121
	;; [unrolled: 7-line block ×3, first 2 shown]
	v_pk_fma_f32 v[138:139], v[56:57], s[12:13], v[136:137] op_sel:[0,0,1] op_sel_hi:[1,0,0] neg_lo:[0,0,1] neg_hi:[0,0,1]
	v_pk_fma_f32 v[136:137], v[56:57], s[12:13], v[136:137] op_sel:[0,0,1] op_sel_hi:[1,0,0]
	v_mov_b32_e32 v140, v138
	v_mov_b32_e32 v141, v137
	v_pk_add_f32 v[24:25], v[140:141], v[24:25]
	ds_write2_b64 v10, v[22:23], v[24:25] offset1:1
	v_pk_add_f32 v[22:23], v[8:9], v[82:83]
	v_pk_add_f32 v[24:25], v[8:9], v[60:61]
	;; [unrolled: 1-line block ×9, first 2 shown]
	v_mov_b32_e32 v127, v129
	v_pk_add_f32 v[24:25], v[76:77], v[24:25]
	v_mov_b32_e32 v107, v109
	v_pk_add_f32 v[22:23], v[126:127], v[22:23]
	v_pk_add_f32 v[24:25], v[106:107], v[24:25]
	ds_write2_b64 v10, v[22:23], v[24:25] offset0:2 offset1:3
	v_pk_mul_f32 v[24:25], v[38:39], s[34:35] op_sel_hi:[1,0]
	v_pk_mul_f32 v[60:61], v[42:43], s[26:27] op_sel_hi:[1,0]
	v_pk_fma_f32 v[70:71], v[4:5], s[28:29], v[24:25] op_sel:[0,0,1] op_sel_hi:[1,0,0] neg_lo:[0,0,1] neg_hi:[0,0,1]
	v_pk_fma_f32 v[24:25], v[4:5], s[28:29], v[24:25] op_sel:[0,0,1] op_sel_hi:[1,0,0]
	v_mov_b32_e32 v72, v70
	v_mov_b32_e32 v73, v25
	v_pk_fma_f32 v[74:75], v[40:41], s[4:5], v[60:61] op_sel:[0,0,1] op_sel_hi:[1,0,0] neg_lo:[0,0,1] neg_hi:[0,0,1]
	v_pk_fma_f32 v[60:61], v[40:41], s[4:5], v[60:61] op_sel:[0,0,1] op_sel_hi:[1,0,0]
	v_pk_mul_f32 v[62:63], v[46:47], s[30:31] op_sel_hi:[1,0]
	v_pk_add_f32 v[72:73], v[8:9], v[72:73]
	v_mov_b32_e32 v76, v74
	v_mov_b32_e32 v77, v61
	v_pk_add_f32 v[72:73], v[76:77], v[72:73]
	v_pk_fma_f32 v[76:77], v[44:45], s[16:17], v[62:63] op_sel:[0,0,1] op_sel_hi:[1,0,0] neg_lo:[0,0,1] neg_hi:[0,0,1]
	v_pk_fma_f32 v[62:63], v[44:45], s[16:17], v[62:63] op_sel:[0,0,1] op_sel_hi:[1,0,0]
	v_pk_mul_f32 v[64:65], v[50:51], s[40:41] op_sel_hi:[1,0]
	v_mov_b32_e32 v78, v76
	v_mov_b32_e32 v79, v63
	;; [unrolled: 1-line block ×3, first 2 shown]
	v_pk_add_f32 v[72:73], v[78:79], v[72:73]
	v_pk_fma_f32 v[78:79], v[48:49], s[12:13], v[64:65] op_sel:[0,0,1] op_sel_hi:[1,0,0] neg_lo:[0,0,1] neg_hi:[0,0,1]
	v_pk_fma_f32 v[64:65], v[48:49], s[12:13], v[64:65] op_sel:[0,0,1] op_sel_hi:[1,0,0]
	v_pk_add_f32 v[22:23], v[8:9], v[96:97]
	v_mov_b32_e32 v105, v103
	v_pk_mul_f32 v[66:67], v[54:55], s[20:21] op_sel_hi:[1,0]
	v_mov_b32_e32 v82, v78
	v_mov_b32_e32 v83, v65
	v_pk_add_f32 v[22:23], v[104:105], v[22:23]
	v_mov_b32_e32 v115, v113
	v_pk_add_f32 v[72:73], v[82:83], v[72:73]
	v_pk_fma_f32 v[82:83], v[52:53], s[18:19], v[66:67] op_sel:[0,0,1] op_sel_hi:[1,0,0] neg_lo:[0,0,1] neg_hi:[0,0,1]
	v_pk_fma_f32 v[66:67], v[52:53], s[18:19], v[66:67] op_sel:[0,0,1] op_sel_hi:[1,0,0]
	v_pk_add_f32 v[22:23], v[114:115], v[22:23]
	v_mov_b32_e32 v119, v117
	v_pk_mul_f32 v[68:69], v[58:59], s[22:23] op_sel_hi:[1,0]
	v_mov_b32_e32 v84, v82
	v_mov_b32_e32 v85, v67
	v_pk_add_f32 v[22:23], v[118:119], v[22:23]
	v_mov_b32_e32 v125, v123
	v_pk_add_f32 v[72:73], v[84:85], v[72:73]
	v_pk_fma_f32 v[84:85], v[56:57], s[10:11], v[68:69] op_sel:[0,0,1] op_sel_hi:[1,0,0] neg_lo:[0,0,1] neg_hi:[0,0,1]
	v_pk_fma_f32 v[68:69], v[56:57], s[10:11], v[68:69] op_sel:[0,0,1] op_sel_hi:[1,0,0]
	v_pk_add_f32 v[22:23], v[124:125], v[22:23]
	v_mov_b32_e32 v133, v131
	v_mov_b32_e32 v86, v84
	;; [unrolled: 1-line block ×3, first 2 shown]
	v_pk_add_f32 v[22:23], v[132:133], v[22:23]
	v_pk_add_f32 v[72:73], v[86:87], v[72:73]
	ds_write2_b64 v10, v[22:23], v[72:73] offset0:4 offset1:5
	v_pk_mul_f32 v[22:23], v[38:39], s[14:15] op_sel_hi:[1,0]
	v_pk_mul_f32 v[42:43], v[42:43], s[20:21] op_sel_hi:[1,0]
	v_pk_fma_f32 v[38:39], v[4:5], s[12:13], v[22:23] op_sel:[0,0,1] op_sel_hi:[1,0,0] neg_lo:[0,0,1] neg_hi:[0,0,1]
	v_pk_fma_f32 v[4:5], v[4:5], s[12:13], v[22:23] op_sel:[0,0,1] op_sel_hi:[1,0,0]
	v_mov_b32_e32 v22, v38
	v_mov_b32_e32 v23, v5
	v_pk_fma_f32 v[72:73], v[40:41], s[18:19], v[42:43] op_sel:[0,0,1] op_sel_hi:[1,0,0] neg_lo:[0,0,1] neg_hi:[0,0,1]
	v_pk_fma_f32 v[40:41], v[40:41], s[18:19], v[42:43] op_sel:[0,0,1] op_sel_hi:[1,0,0]
	v_pk_add_f32 v[22:23], v[8:9], v[22:23]
	v_mov_b32_e32 v42, v72
	v_mov_b32_e32 v43, v41
	v_pk_add_f32 v[22:23], v[42:43], v[22:23]
	v_pk_mul_f32 v[42:43], v[46:47], s[34:35] op_sel_hi:[1,0]
	v_mov_b32_e32 v5, v39
	v_pk_fma_f32 v[46:47], v[44:45], s[28:29], v[42:43] op_sel:[0,0,1] op_sel_hi:[1,0,0] neg_lo:[0,0,1] neg_hi:[0,0,1]
	v_pk_fma_f32 v[42:43], v[44:45], s[28:29], v[42:43] op_sel:[0,0,1] op_sel_hi:[1,0,0]
	v_mov_b32_e32 v44, v46
	v_mov_b32_e32 v45, v43
	v_pk_add_f32 v[22:23], v[44:45], v[22:23]
	v_pk_mul_f32 v[44:45], v[50:51], s[36:37] op_sel_hi:[1,0]
	v_pk_add_f32 v[4:5], v[8:9], v[4:5]
	v_pk_fma_f32 v[50:51], v[48:49], s[16:17], v[44:45] op_sel:[0,0,1] op_sel_hi:[1,0,0] neg_lo:[0,0,1] neg_hi:[0,0,1]
	v_pk_fma_f32 v[44:45], v[48:49], s[16:17], v[44:45] op_sel:[0,0,1] op_sel_hi:[1,0,0]
	v_mov_b32_e32 v48, v50
	v_mov_b32_e32 v49, v45
	v_pk_add_f32 v[22:23], v[48:49], v[22:23]
	v_pk_mul_f32 v[48:49], v[54:55], s[22:23] op_sel_hi:[1,0]
	v_mov_b32_e32 v41, v73
	v_pk_fma_f32 v[54:55], v[52:53], s[10:11], v[48:49] op_sel:[0,0,1] op_sel_hi:[1,0,0] neg_lo:[0,0,1] neg_hi:[0,0,1]
	v_pk_fma_f32 v[48:49], v[52:53], s[10:11], v[48:49] op_sel:[0,0,1] op_sel_hi:[1,0,0]
	v_mov_b32_e32 v52, v54
	v_mov_b32_e32 v53, v49
	v_pk_add_f32 v[4:5], v[40:41], v[4:5]
	v_mov_b32_e32 v43, v47
	v_pk_add_f32 v[22:23], v[52:53], v[22:23]
	v_pk_mul_f32 v[52:53], v[58:59], s[26:27] op_sel_hi:[1,0]
	v_pk_add_f32 v[4:5], v[42:43], v[4:5]
	v_mov_b32_e32 v45, v51
	v_pk_fma_f32 v[58:59], v[56:57], s[4:5], v[52:53] op_sel:[0,0,1] op_sel_hi:[1,0,0] neg_lo:[0,0,1] neg_hi:[0,0,1]
	v_pk_fma_f32 v[52:53], v[56:57], s[4:5], v[52:53] op_sel:[0,0,1] op_sel_hi:[1,0,0]
	v_pk_add_f32 v[4:5], v[44:45], v[4:5]
	v_mov_b32_e32 v49, v55
	v_mov_b32_e32 v56, v58
	;; [unrolled: 1-line block ×3, first 2 shown]
	v_pk_add_f32 v[4:5], v[48:49], v[4:5]
	v_mov_b32_e32 v53, v59
	v_pk_add_f32 v[22:23], v[56:57], v[22:23]
	v_pk_add_f32 v[4:5], v[52:53], v[4:5]
	v_mov_b32_e32 v25, v71
	ds_write2_b64 v10, v[22:23], v[4:5] offset0:6 offset1:7
	v_pk_add_f32 v[4:5], v[8:9], v[24:25]
	v_mov_b32_e32 v61, v75
	v_pk_add_f32 v[4:5], v[60:61], v[4:5]
	v_mov_b32_e32 v63, v77
	;; [unrolled: 2-line block ×6, first 2 shown]
	ds_write2_b64 v10, v[4:5], v[6:7] offset0:8 offset1:9
	ds_write2_b64 v10, v[0:1], v[2:3] offset0:10 offset1:11
	v_pk_add_f32 v[4:5], v[8:9], v[12:13]
	v_mov_b32_e32 v17, v15
	v_pk_add_f32 v[4:5], v[16:17], v[4:5]
	v_mov_b32_e32 v21, v19
	;; [unrolled: 2-line block ×5, first 2 shown]
	v_pk_add_f32 v[4:5], v[136:137], v[4:5]
	ds_write_b64 v10, v[4:5] offset:96
.LBB0_23:
	s_or_b64 exec, exec, s[24:25]
	s_movk_i32 s0, 0x4f
	v_mul_lo_u16_sdwa v4, v36, s0 dst_sel:DWORD dst_unused:UNUSED_PAD src0_sel:BYTE_0 src1_sel:DWORD
	v_lshrrev_b16_e32 v24, 10, v4
	v_mul_lo_u16_e32 v4, 13, v24
	v_sub_u16_e32 v25, v36, v4
	v_mov_b32_e32 v4, 6
	v_lshlrev_b32_sdwa v4, v4, v25 dst_sel:DWORD dst_unused:UNUSED_PAD src0_sel:DWORD src1_sel:BYTE_0
	s_waitcnt lgkmcnt(0)
	; wave barrier
	s_waitcnt lgkmcnt(0)
	global_load_dwordx4 v[12:15], v4, s[8:9]
	global_load_dwordx4 v[16:19], v4, s[8:9] offset:48
	global_load_dwordx4 v[20:23], v4, s[8:9] offset:16
	;; [unrolled: 1-line block ×3, first 2 shown]
	v_add_u32_e32 v26, 0x400, v134
	ds_read2_b64 v[8:11], v134 offset1:52
	ds_read2_b64 v[38:41], v134 offset0:104 offset1:156
	ds_read2_b64 v[42:45], v37 offset0:56 offset1:108
	ds_read_b64 v[4:5], v134 offset:3328
	ds_read2_b64 v[46:49], v26 offset0:80 offset1:132
	v_mov_b32_e32 v27, 3
	v_mul_u32_u24_e32 v24, 0x3a8, v24
	v_lshlrev_b32_sdwa v27, v27, v25 dst_sel:DWORD dst_unused:UNUSED_PAD src0_sel:DWORD src1_sel:BYTE_0
	s_waitcnt lgkmcnt(4)
	v_mov_b32_e32 v52, v11
	s_waitcnt lgkmcnt(3)
	v_mov_b32_e32 v53, v39
	v_mov_b32_e32 v54, v39
	;; [unrolled: 1-line block ×3, first 2 shown]
	s_waitcnt lgkmcnt(2)
	v_mov_b32_e32 v56, v45
	s_waitcnt lgkmcnt(1)
	v_mov_b32_e32 v57, v5
	v_mov_b32_e32 v58, v5
	;; [unrolled: 1-line block ×10, first 2 shown]
	v_add3_u32 v82, 0, v24, v27
	s_mov_b32 s0, 0x3f248dbb
	s_mov_b32 s1, 0x3f7c1c5c
	s_mov_b32 s4, s1
	s_mov_b32 s5, s0
	s_mov_b32 s10, 0x3eaf1d44
	s_mov_b32 s12, 0x3f441b7d
	s_mov_b32 s14, 0x3e31d0d4
	s_mov_b32 s16, 0x3f708fb2
	s_waitcnt lgkmcnt(0)
	; wave barrier
	s_waitcnt lgkmcnt(0)
	s_mov_b32 s18, s1
	s_waitcnt vmcnt(3)
	v_mov_b32_e32 v70, v12
	v_mov_b32_e32 v71, v15
	s_waitcnt vmcnt(1)
	v_mul_f32_e32 v78, v21, v41
	s_waitcnt vmcnt(0)
	v_pk_mul_f32 v[64:65], v[42:43], v[30:31]
	v_pk_mul_f32 v[66:67], v[22:23], v[46:47] op_sel:[0,1]
	v_pk_mul_f32 v[68:69], v[28:29], v[48:49] op_sel:[0,1]
	v_mov_b32_e32 v73, v12
	v_mov_b32_e32 v12, v15
	;; [unrolled: 1-line block ×10, first 2 shown]
	v_mul_f32_e32 v41, v20, v41
	v_mul_f32_e32 v21, v21, v40
	v_mov_b32_e32 v27, v30
	v_mov_b32_e32 v72, v14
	v_mov_b32_e32 v76, v18
	v_fma_f32 v79, v20, v40, -v78
	v_mov_b32_e32 v20, v65
	v_pk_fma_f32 v[80:81], v[22:23], v[46:47], v[66:67] op_sel:[0,0,1] op_sel_hi:[1,1,0] neg_lo:[0,0,1] neg_hi:[0,0,1]
	v_pk_fma_f32 v[22:23], v[22:23], v[46:47], v[66:67] op_sel:[0,0,1] op_sel_hi:[1,0,0]
	v_pk_fma_f32 v[46:47], v[28:29], v[48:49], v[68:69] op_sel:[0,0,1] op_sel_hi:[1,1,0] neg_lo:[0,0,1] neg_hi:[0,0,1]
	v_pk_fma_f32 v[28:29], v[28:29], v[48:49], v[68:69] op_sel:[0,0,1] op_sel_hi:[1,0,0]
	v_pk_mul_f32 v[48:49], v[70:71], v[52:53]
	v_pk_mul_f32 v[12:13], v[12:13], v[38:39]
	;; [unrolled: 1-line block ×6, first 2 shown]
	v_pk_fma_f32 v[16:17], v[42:43], v[30:31], v[20:21] neg_lo:[0,0,1] neg_hi:[0,0,1]
	v_mov_b32_e32 v47, v29
	v_pk_fma_f32 v[28:29], v[60:61], v[50:51], v[48:49] neg_lo:[0,0,1] neg_hi:[0,0,1]
	v_pk_fma_f32 v[14:15], v[14:15], v[54:55], v[12:13] op_sel_hi:[0,1,1]
	v_pk_fma_f32 v[12:13], v[72:73], v[54:55], v[12:13] neg_lo:[0,0,1] neg_hi:[0,0,1]
	v_pk_fma_f32 v[30:31], v[44:45], v[62:63], v[38:39]
	v_pk_fma_f32 v[10:11], v[10:11], v[62:63], v[38:39] neg_lo:[0,0,1] neg_hi:[0,0,1]
	v_pk_fma_f32 v[18:19], v[58:59], v[18:19], v[4:5] op_sel_hi:[1,0,1]
	v_pk_fma_f32 v[4:5], v[58:59], v[76:77], v[4:5] neg_lo:[0,0,1] neg_hi:[0,0,1]
	v_mov_b32_e32 v81, v23
	v_pk_fma_f32 v[22:23], v[60:61], v[50:51], v[48:49]
	v_mov_b32_e32 v15, v13
	v_mov_b32_e32 v31, v11
	;; [unrolled: 1-line block ×8, first 2 shown]
	v_pk_add_f32 v[42:43], v[14:15], v[30:31]
	v_pk_add_f32 v[14:15], v[14:15], v[30:31] neg_lo:[0,1] neg_hi:[0,1]
	v_pk_add_f32 v[10:11], v[64:65], v[24:25]
	v_pk_add_f32 v[4:5], v[40:41], v[20:21]
	;; [unrolled: 1-line block ×3, first 2 shown]
	v_pk_add_f32 v[18:19], v[22:23], v[18:19] neg_lo:[0,1] neg_hi:[0,1]
	v_pk_mul_f32 v[22:23], v[14:15], s[4:5]
	v_mov_b32_e32 v78, v5
	v_mov_b32_e32 v12, v11
	;; [unrolled: 1-line block ×3, first 2 shown]
	v_pk_fma_f32 v[22:23], v[18:19], s[0:1], v[22:23]
	v_pk_add_f32 v[12:13], v[78:79], v[12:13] neg_lo:[0,1] neg_hi:[0,1]
	s_mov_b32 s4, 0x3f5db3d7
	v_pk_fma_f32 v[20:21], v[12:13], s[4:5], v[22:23] op_sel_hi:[1,0,1]
	v_pk_add_f32 v[22:23], v[80:81], v[46:47] neg_lo:[0,1] neg_hi:[0,1]
	v_mov_b32_e32 v28, v10
	v_pk_mul_f32 v[24:25], v[22:23], s[10:11] op_sel_hi:[1,0]
	v_mov_b32_e32 v29, v38
	v_mov_b32_e32 v40, v79
	;; [unrolled: 1-line block ×4, first 2 shown]
	v_pk_add_f32 v[20:21], v[24:25], v[20:21] op_sel:[1,0] op_sel_hi:[0,1]
	v_pk_fma_f32 v[24:25], v[28:29], s[12:13], v[8:9] op_sel_hi:[1,0,1]
	v_mov_b32_e32 v30, v4
	v_mov_b32_e32 v31, v42
	v_pk_add_f32 v[16:17], v[40:41], v[16:17]
	v_pk_add_f32 v[10:11], v[4:5], v[10:11]
	v_pk_fma_f32 v[24:25], v[30:31], s[14:15], v[24:25] op_sel_hi:[1,0,1]
	v_mov_b32_e32 v38, v16
	v_mov_b32_e32 v39, v11
	v_pk_fma_f32 v[4:5], v[38:39], 0.5, v[24:25] op_sel_hi:[1,0,1] neg_lo:[1,0,0] neg_hi:[1,0,0]
	v_pk_add_f32 v[40:41], v[80:81], v[46:47]
	v_pk_mul_f32 v[44:45], v[22:23], s[0:1] op_sel_hi:[1,0]
	v_pk_fma_f32 v[4:5], v[40:41], s[16:17], v[4:5] op_sel_hi:[1,0,1] neg_lo:[1,0,0] neg_hi:[1,0,0]
	s_mov_b32 s0, 0xbf248dbb
	v_pk_add_f32 v[42:43], v[4:5], v[20:21]
	v_pk_add_f32 v[4:5], v[4:5], v[20:21] neg_lo:[0,1] neg_hi:[0,1]
	v_add_f32_e32 v21, v21, v21
	v_mov_b32_e32 v43, v5
	v_add_f32_e32 v4, v20, v20
	v_mov_b32_e32 v20, v42
	v_pk_add_f32 v[24:25], v[20:21], v[42:43]
	v_pk_add_f32 v[20:21], v[10:11], v[16:17]
	v_pk_add_f32 v[4:5], v[42:43], v[4:5] neg_lo:[0,1] neg_hi:[0,1]
	v_pk_add_f32 v[20:21], v[80:81], v[20:21]
	v_mov_b32_e32 v11, v17
	v_pk_add_f32 v[20:21], v[46:47], v[20:21]
	v_pk_fma_f32 v[46:47], v[40:41], s[12:13], v[8:9] op_sel_hi:[1,0,1]
	v_pk_add_f32 v[20:21], v[8:9], v[20:21]
	ds_write2_b64 v82, v[20:21], v[42:43] offset1:13
	v_mov_b32_e32 v20, v18
	v_mov_b32_e32 v21, v15
	v_pk_fma_f32 v[44:45], v[20:21], s[18:19], v[44:45] op_sel:[0,0,1] op_sel_hi:[1,0,0] neg_lo:[0,0,1] neg_hi:[0,0,1]
	v_pk_fma_f32 v[46:47], v[28:29], s[14:15], v[46:47] op_sel_hi:[1,0,1]
	v_mov_b32_e32 v42, v14
	v_mov_b32_e32 v43, v19
	v_pk_fma_f32 v[44:45], v[12:13], s[4:5], v[44:45] op_sel_hi:[1,0,1] neg_lo:[1,0,0] neg_hi:[1,0,0]
	v_pk_fma_f32 v[46:47], v[38:39], 0.5, v[46:47] op_sel_hi:[1,0,1] neg_lo:[1,0,0] neg_hi:[1,0,0]
	v_pk_fma_f32 v[44:45], v[42:43], s[10:11], v[44:45] op_sel_hi:[1,0,1]
	v_pk_fma_f32 v[46:47], v[30:31], s[16:17], v[46:47] op_sel_hi:[1,0,1] neg_lo:[1,0,0] neg_hi:[1,0,0]
	v_pk_add_f32 v[10:11], v[40:41], v[10:11]
	v_pk_add_f32 v[48:49], v[46:47], v[44:45]
	v_pk_add_f32 v[46:47], v[46:47], v[44:45] neg_lo:[0,1] neg_hi:[0,1]
	v_mov_b32_e32 v5, v25
	v_fma_f32 v46, -2.0, v44, v48
	v_mov_b32_e32 v49, v47
	v_fmac_f32_e32 v47, 2.0, v45
	v_mov_b32_e32 v44, v15
	v_mov_b32_e32 v45, v18
	v_pk_add_f32 v[44:45], v[22:23], v[44:45]
	v_mov_b32_e32 v18, v19
	v_mov_b32_e32 v19, v14
	v_pk_add_f32 v[14:15], v[44:45], v[18:19] neg_lo:[0,1] neg_hi:[0,1]
	v_pk_add_f32 v[18:19], v[38:39], v[8:9]
	v_pk_mul_f32 v[14:15], v[14:15], s[4:5] op_sel_hi:[1,0]
	v_pk_fma_f32 v[10:11], v[10:11], 0.5, v[18:19] op_sel_hi:[1,0,1] neg_lo:[1,0,0] neg_hi:[1,0,0]
	v_pk_fma_f32 v[8:9], v[30:31], s[12:13], v[8:9] op_sel_hi:[1,0,1]
	v_pk_add_f32 v[16:17], v[10:11], v[14:15] op_sel:[0,1] op_sel_hi:[1,0]
	v_pk_add_f32 v[10:11], v[10:11], v[14:15] op_sel:[0,1] op_sel_hi:[1,0] neg_lo:[0,1] neg_hi:[0,1]
	v_pk_fma_f32 v[8:9], v[40:41], s[14:15], v[8:9] op_sel_hi:[1,0,1]
	v_fma_f32 v10, -2.0, v15, v16
	v_mov_b32_e32 v17, v11
	v_fmac_f32_e32 v11, 2.0, v14
	v_pk_mul_f32 v[14:15], v[22:23], s[18:19] op_sel_hi:[1,0]
	v_pk_fma_f32 v[8:9], v[38:39], 0.5, v[8:9] op_sel_hi:[1,0,1] neg_lo:[1,0,0] neg_hi:[1,0,0]
	v_pk_fma_f32 v[14:15], v[42:43], s[0:1], v[14:15] op_sel:[0,0,1] op_sel_hi:[1,0,0] neg_lo:[0,0,1] neg_hi:[0,0,1]
	v_pk_fma_f32 v[8:9], v[28:29], s[16:17], v[8:9] op_sel_hi:[1,0,1] neg_lo:[1,0,0] neg_hi:[1,0,0]
	v_pk_fma_f32 v[12:13], v[12:13], s[4:5], v[14:15] op_sel_hi:[1,0,1]
	ds_write2_b64 v82, v[48:49], v[16:17] offset0:26 offset1:39
	v_pk_fma_f32 v[12:13], v[20:21], s[10:11], v[12:13] op_sel_hi:[1,0,1]
	v_cmp_gt_u32_e64 s[0:1], 13, v36
	v_pk_add_f32 v[14:15], v[8:9], v[12:13]
	v_pk_add_f32 v[8:9], v[8:9], v[12:13] neg_lo:[0,1] neg_hi:[0,1]
	s_nop 0
	v_fma_f32 v8, -2.0, v12, v14
	v_mov_b32_e32 v15, v9
	v_fmac_f32_e32 v9, 2.0, v13
	ds_write2_b64 v82, v[14:15], v[8:9] offset0:52 offset1:65
	ds_write2_b64 v82, v[10:11], v[46:47] offset0:78 offset1:91
	ds_write_b64 v82, v[4:5] offset:832
	s_waitcnt lgkmcnt(0)
	; wave barrier
	s_waitcnt lgkmcnt(0)
	ds_read2_b64 v[8:11], v134 offset1:52
	ds_read2_b64 v[12:15], v134 offset0:117 offset1:169
	ds_read2_b64 v[16:19], v26 offset0:106 offset1:158
	;; [unrolled: 1-line block ×3, first 2 shown]
	s_and_saveexec_b64 s[4:5], s[0:1]
	s_cbranch_execz .LBB0_25
; %bb.24:
	ds_read2_b64 v[4:7], v134 offset0:104 offset1:221
	v_add_u32_e32 v0, 0x800, v134
	ds_read2_b64 v[0:3], v0 offset0:82 offset1:199
	s_waitcnt lgkmcnt(1)
	v_mov_b32_e32 v25, v5
.LBB0_25:
	s_or_b64 exec, exec, s[4:5]
	v_mul_u32_u24_e32 v5, 3, v36
	v_lshlrev_b32_e32 v5, 3, v5
	global_load_dwordx4 v[28:31], v5, s[8:9] offset:832
	global_load_dwordx2 v[42:43], v5, s[8:9] offset:848
	global_load_dwordx4 v[38:41], v5, s[8:9] offset:2080
	global_load_dwordx2 v[44:45], v5, s[8:9] offset:2096
	v_add_u32_e32 v24, 0x800, v134
	s_waitcnt lgkmcnt(0)
	; wave barrier
	s_waitcnt vmcnt(3) lgkmcnt(0)
	v_pk_mul_f32 v[46:47], v[28:29], v[12:13] op_sel:[0,1]
	v_pk_mul_f32 v[48:49], v[30:31], v[16:17] op_sel:[0,1]
	s_waitcnt vmcnt(2)
	v_pk_mul_f32 v[50:51], v[42:43], v[20:21] op_sel:[0,1]
	s_waitcnt vmcnt(1)
	v_pk_mul_f32 v[52:53], v[38:39], v[14:15] op_sel:[0,1]
	v_pk_mul_f32 v[54:55], v[40:41], v[18:19] op_sel:[0,1]
	s_waitcnt vmcnt(0)
	v_pk_mul_f32 v[56:57], v[44:45], v[22:23] op_sel:[0,1]
	v_pk_fma_f32 v[58:59], v[28:29], v[12:13], v[46:47] op_sel:[0,0,1] op_sel_hi:[1,1,0] neg_lo:[0,0,1] neg_hi:[0,0,1]
	v_pk_fma_f32 v[12:13], v[28:29], v[12:13], v[46:47] op_sel:[0,0,1] op_sel_hi:[1,0,0]
	v_pk_fma_f32 v[28:29], v[30:31], v[16:17], v[48:49] op_sel:[0,0,1] op_sel_hi:[1,1,0] neg_lo:[0,0,1] neg_hi:[0,0,1]
	v_pk_fma_f32 v[16:17], v[30:31], v[16:17], v[48:49] op_sel:[0,0,1] op_sel_hi:[1,0,0]
	;; [unrolled: 2-line block ×6, first 2 shown]
	v_mov_b32_e32 v59, v13
	v_mov_b32_e32 v29, v17
	;; [unrolled: 1-line block ×6, first 2 shown]
	v_pk_add_f32 v[12:13], v[8:9], v[28:29] neg_lo:[0,1] neg_hi:[0,1]
	v_pk_add_f32 v[14:15], v[58:59], v[30:31] neg_lo:[0,1] neg_hi:[0,1]
	;; [unrolled: 1-line block ×4, first 2 shown]
	v_pk_fma_f32 v[8:9], v[8:9], 2.0, v[12:13] op_sel_hi:[1,0,1] neg_lo:[0,0,1] neg_hi:[0,0,1]
	v_pk_fma_f32 v[20:21], v[58:59], 2.0, v[14:15] op_sel_hi:[1,0,1] neg_lo:[0,0,1] neg_hi:[0,0,1]
	;; [unrolled: 1-line block ×4, first 2 shown]
	v_pk_add_f32 v[28:29], v[12:13], v[14:15] op_sel:[0,1] op_sel_hi:[1,0] neg_lo:[0,1] neg_hi:[0,1]
	v_pk_add_f32 v[14:15], v[12:13], v[14:15] op_sel:[0,1] op_sel_hi:[1,0]
	v_pk_add_f32 v[30:31], v[16:17], v[18:19] op_sel:[0,1] op_sel_hi:[1,0] neg_lo:[0,1] neg_hi:[0,1]
	v_pk_add_f32 v[18:19], v[16:17], v[18:19] op_sel:[0,1] op_sel_hi:[1,0]
	v_pk_add_f32 v[20:21], v[8:9], v[20:21] neg_lo:[0,1] neg_hi:[0,1]
	v_pk_add_f32 v[22:23], v[10:11], v[22:23] neg_lo:[0,1] neg_hi:[0,1]
	v_mov_b32_e32 v29, v15
	v_mov_b32_e32 v31, v19
	v_pk_fma_f32 v[8:9], v[8:9], 2.0, v[20:21] op_sel_hi:[1,0,1] neg_lo:[0,0,1] neg_hi:[0,0,1]
	v_pk_fma_f32 v[10:11], v[10:11], 2.0, v[22:23] op_sel_hi:[1,0,1] neg_lo:[0,0,1] neg_hi:[0,0,1]
	;; [unrolled: 1-line block ×4, first 2 shown]
	ds_write2_b64 v26, v[20:21], v[22:23] offset0:106 offset1:158
	ds_write2_b64 v134, v[8:9], v[10:11] offset1:52
	ds_write2_b64 v134, v[12:13], v[14:15] offset0:117 offset1:169
	ds_write2_b64 v24, v[28:29], v[30:31] offset0:95 offset1:147
	s_and_saveexec_b64 s[4:5], s[0:1]
	s_cbranch_execz .LBB0_27
; %bb.26:
	v_add_u32_e32 v5, 0x68, v36
	v_add_u32_e32 v8, -13, v36
	v_cndmask_b32_e64 v5, v8, v5, s[0:1]
	v_mul_i32_i24_e32 v8, 3, v5
	v_mov_b32_e32 v9, 0
	v_lshl_add_u64 v[12:13], v[8:9], 3, s[8:9]
	global_load_dwordx4 v[8:11], v[12:13], off offset:832
	global_load_dwordx2 v[14:15], v[12:13], off offset:848
	v_mov_b32_e32 v12, v7
	v_mov_b32_e32 v5, v25
	s_waitcnt vmcnt(1)
	v_pk_mul_f32 v[16:17], v[0:1], v[10:11] op_sel:[1,0]
	v_pk_mul_f32 v[12:13], v[12:13], v[8:9] op_sel_hi:[0,1]
	s_waitcnt vmcnt(0)
	v_pk_mul_f32 v[18:19], v[2:3], v[14:15] op_sel:[1,0]
	v_pk_fma_f32 v[20:21], v[0:1], v[10:11], v[16:17] op_sel:[0,0,1] op_sel_hi:[1,1,0] neg_lo:[0,0,1] neg_hi:[0,0,1]
	v_pk_fma_f32 v[0:1], v[0:1], v[10:11], v[16:17] op_sel:[0,0,1] op_sel_hi:[0,1,0]
	v_pk_fma_f32 v[10:11], v[6:7], v[8:9], v[12:13] op_sel:[0,0,1] op_sel_hi:[1,1,0] neg_lo:[0,0,1] neg_hi:[0,0,1]
	v_pk_fma_f32 v[6:7], v[6:7], v[8:9], v[12:13] op_sel:[0,0,1] op_sel_hi:[0,1,0]
	;; [unrolled: 2-line block ×3, first 2 shown]
	v_mov_b32_e32 v21, v1
	v_mov_b32_e32 v11, v7
	;; [unrolled: 1-line block ×3, first 2 shown]
	v_pk_add_f32 v[0:1], v[4:5], v[20:21] neg_lo:[0,1] neg_hi:[0,1]
	v_pk_add_f32 v[2:3], v[10:11], v[8:9] neg_lo:[0,1] neg_hi:[0,1]
	v_pk_fma_f32 v[4:5], v[4:5], 2.0, v[0:1] op_sel_hi:[1,0,1] neg_lo:[0,0,1] neg_hi:[0,0,1]
	v_pk_fma_f32 v[6:7], v[10:11], 2.0, v[2:3] op_sel_hi:[1,0,1] neg_lo:[0,0,1] neg_hi:[0,0,1]
	v_pk_add_f32 v[8:9], v[0:1], v[2:3] op_sel:[0,1] op_sel_hi:[1,0] neg_lo:[0,1] neg_hi:[0,1]
	v_pk_add_f32 v[2:3], v[0:1], v[2:3] op_sel:[0,1] op_sel_hi:[1,0]
	v_pk_add_f32 v[6:7], v[4:5], v[6:7] neg_lo:[0,1] neg_hi:[0,1]
	v_mov_b32_e32 v9, v3
	v_pk_fma_f32 v[2:3], v[4:5], 2.0, v[6:7] op_sel_hi:[1,0,1] neg_lo:[0,0,1] neg_hi:[0,0,1]
	v_pk_fma_f32 v[0:1], v[0:1], 2.0, v[8:9] op_sel_hi:[1,0,1] neg_lo:[0,0,1] neg_hi:[0,0,1]
	ds_write2_b64 v134, v[2:3], v[0:1] offset0:104 offset1:221
	ds_write2_b64 v24, v[6:7], v[8:9] offset0:82 offset1:199
.LBB0_27:
	s_or_b64 exec, exec, s[4:5]
	s_waitcnt lgkmcnt(0)
	; wave barrier
	s_waitcnt lgkmcnt(0)
	s_and_saveexec_b64 s[0:1], vcc
	s_cbranch_execz .LBB0_29
; %bb.28:
	v_mul_lo_u32 v0, s3, v34
	v_mul_lo_u32 v1, s2, v35
	v_mad_u64_u32 v[4:5], s[0:1], s2, v34, 0
	v_lshl_add_u32 v10, v36, 3, 0
	v_add3_u32 v5, v5, v1, v0
	ds_read2_b64 v[0:3], v10 offset1:52
	v_lshl_add_u64 v[4:5], v[4:5], 3, s[6:7]
	v_mov_b32_e32 v37, 0
	v_lshl_add_u64 v[8:9], v[32:33], 3, v[4:5]
	v_lshl_add_u64 v[4:5], v[36:37], 3, v[8:9]
	s_waitcnt lgkmcnt(0)
	global_store_dwordx2 v[4:5], v[0:1], off
	ds_read2_b64 v[4:7], v10 offset0:104 offset1:156
	v_add_u32_e32 v0, 52, v36
	v_mov_b32_e32 v1, v37
	v_lshl_add_u64 v[0:1], v[0:1], 3, v[8:9]
	global_store_dwordx2 v[0:1], v[2:3], off
	v_add_u32_e32 v0, 0x68, v36
	v_mov_b32_e32 v1, v37
	v_lshl_add_u64 v[0:1], v[0:1], 3, v[8:9]
	s_waitcnt lgkmcnt(0)
	global_store_dwordx2 v[0:1], v[4:5], off
	v_add_u32_e32 v0, 0x9c, v36
	v_mov_b32_e32 v1, v37
	v_lshl_add_u64 v[4:5], v[0:1], 3, v[8:9]
	v_add_u32_e32 v0, 0x400, v10
	ds_read2_b64 v[0:3], v0 offset0:80 offset1:132
	global_store_dwordx2 v[4:5], v[6:7], off
	v_add_u32_e32 v4, 0xd0, v36
	v_mov_b32_e32 v5, v37
	v_lshl_add_u64 v[4:5], v[4:5], 3, v[8:9]
	s_waitcnt lgkmcnt(0)
	global_store_dwordx2 v[4:5], v[0:1], off
	v_add_u32_e32 v4, 0x800, v10
	ds_read2_b64 v[4:7], v4 offset0:56 offset1:108
	v_add_u32_e32 v0, 0x104, v36
	v_mov_b32_e32 v1, v37
	v_lshl_add_u64 v[0:1], v[0:1], 3, v[8:9]
	global_store_dwordx2 v[0:1], v[2:3], off
	v_add_u32_e32 v0, 0x138, v36
	v_mov_b32_e32 v1, v37
	ds_read_b64 v[2:3], v10 offset:3328
	v_lshl_add_u64 v[0:1], v[0:1], 3, v[8:9]
	s_waitcnt lgkmcnt(1)
	global_store_dwordx2 v[0:1], v[4:5], off
	v_add_u32_e32 v0, 0x16c, v36
	v_mov_b32_e32 v1, v37
	v_lshl_add_u64 v[0:1], v[0:1], 3, v[8:9]
	v_add_u32_e32 v36, 0x1a0, v36
	global_store_dwordx2 v[0:1], v[6:7], off
	v_lshl_add_u64 v[0:1], v[36:37], 3, v[8:9]
	s_waitcnt lgkmcnt(0)
	global_store_dwordx2 v[0:1], v[2:3], off
.LBB0_29:
	s_endpgm
	.section	.rodata,"a",@progbits
	.p2align	6, 0x0
	.amdhsa_kernel fft_rtc_fwd_len468_factors_13_9_4_wgs_52_tpt_52_sp_op_CI_CI_unitstride_sbrr_C2R_dirReg
		.amdhsa_group_segment_fixed_size 0
		.amdhsa_private_segment_fixed_size 0
		.amdhsa_kernarg_size 104
		.amdhsa_user_sgpr_count 2
		.amdhsa_user_sgpr_dispatch_ptr 0
		.amdhsa_user_sgpr_queue_ptr 0
		.amdhsa_user_sgpr_kernarg_segment_ptr 1
		.amdhsa_user_sgpr_dispatch_id 0
		.amdhsa_user_sgpr_kernarg_preload_length 0
		.amdhsa_user_sgpr_kernarg_preload_offset 0
		.amdhsa_user_sgpr_private_segment_size 0
		.amdhsa_uses_dynamic_stack 0
		.amdhsa_enable_private_segment 0
		.amdhsa_system_sgpr_workgroup_id_x 1
		.amdhsa_system_sgpr_workgroup_id_y 0
		.amdhsa_system_sgpr_workgroup_id_z 0
		.amdhsa_system_sgpr_workgroup_info 0
		.amdhsa_system_vgpr_workitem_id 0
		.amdhsa_next_free_vgpr 142
		.amdhsa_next_free_sgpr 42
		.amdhsa_accum_offset 144
		.amdhsa_reserve_vcc 1
		.amdhsa_float_round_mode_32 0
		.amdhsa_float_round_mode_16_64 0
		.amdhsa_float_denorm_mode_32 3
		.amdhsa_float_denorm_mode_16_64 3
		.amdhsa_dx10_clamp 1
		.amdhsa_ieee_mode 1
		.amdhsa_fp16_overflow 0
		.amdhsa_tg_split 0
		.amdhsa_exception_fp_ieee_invalid_op 0
		.amdhsa_exception_fp_denorm_src 0
		.amdhsa_exception_fp_ieee_div_zero 0
		.amdhsa_exception_fp_ieee_overflow 0
		.amdhsa_exception_fp_ieee_underflow 0
		.amdhsa_exception_fp_ieee_inexact 0
		.amdhsa_exception_int_div_zero 0
	.end_amdhsa_kernel
	.text
.Lfunc_end0:
	.size	fft_rtc_fwd_len468_factors_13_9_4_wgs_52_tpt_52_sp_op_CI_CI_unitstride_sbrr_C2R_dirReg, .Lfunc_end0-fft_rtc_fwd_len468_factors_13_9_4_wgs_52_tpt_52_sp_op_CI_CI_unitstride_sbrr_C2R_dirReg
                                        ; -- End function
	.section	.AMDGPU.csdata,"",@progbits
; Kernel info:
; codeLenInByte = 7240
; NumSgprs: 48
; NumVgprs: 142
; NumAgprs: 0
; TotalNumVgprs: 142
; ScratchSize: 0
; MemoryBound: 0
; FloatMode: 240
; IeeeMode: 1
; LDSByteSize: 0 bytes/workgroup (compile time only)
; SGPRBlocks: 5
; VGPRBlocks: 17
; NumSGPRsForWavesPerEU: 48
; NumVGPRsForWavesPerEU: 142
; AccumOffset: 144
; Occupancy: 3
; WaveLimiterHint : 1
; COMPUTE_PGM_RSRC2:SCRATCH_EN: 0
; COMPUTE_PGM_RSRC2:USER_SGPR: 2
; COMPUTE_PGM_RSRC2:TRAP_HANDLER: 0
; COMPUTE_PGM_RSRC2:TGID_X_EN: 1
; COMPUTE_PGM_RSRC2:TGID_Y_EN: 0
; COMPUTE_PGM_RSRC2:TGID_Z_EN: 0
; COMPUTE_PGM_RSRC2:TIDIG_COMP_CNT: 0
; COMPUTE_PGM_RSRC3_GFX90A:ACCUM_OFFSET: 35
; COMPUTE_PGM_RSRC3_GFX90A:TG_SPLIT: 0
	.text
	.p2alignl 6, 3212836864
	.fill 256, 4, 3212836864
	.type	__hip_cuid_77a360d044743096,@object ; @__hip_cuid_77a360d044743096
	.section	.bss,"aw",@nobits
	.globl	__hip_cuid_77a360d044743096
__hip_cuid_77a360d044743096:
	.byte	0                               ; 0x0
	.size	__hip_cuid_77a360d044743096, 1

	.ident	"AMD clang version 19.0.0git (https://github.com/RadeonOpenCompute/llvm-project roc-6.4.0 25133 c7fe45cf4b819c5991fe208aaa96edf142730f1d)"
	.section	".note.GNU-stack","",@progbits
	.addrsig
	.addrsig_sym __hip_cuid_77a360d044743096
	.amdgpu_metadata
---
amdhsa.kernels:
  - .agpr_count:     0
    .args:
      - .actual_access:  read_only
        .address_space:  global
        .offset:         0
        .size:           8
        .value_kind:     global_buffer
      - .offset:         8
        .size:           8
        .value_kind:     by_value
      - .actual_access:  read_only
        .address_space:  global
        .offset:         16
        .size:           8
        .value_kind:     global_buffer
      - .actual_access:  read_only
        .address_space:  global
        .offset:         24
        .size:           8
        .value_kind:     global_buffer
      - .actual_access:  read_only
        .address_space:  global
        .offset:         32
        .size:           8
        .value_kind:     global_buffer
      - .offset:         40
        .size:           8
        .value_kind:     by_value
      - .actual_access:  read_only
        .address_space:  global
        .offset:         48
        .size:           8
        .value_kind:     global_buffer
      - .actual_access:  read_only
        .address_space:  global
        .offset:         56
        .size:           8
        .value_kind:     global_buffer
      - .offset:         64
        .size:           4
        .value_kind:     by_value
      - .actual_access:  read_only
        .address_space:  global
        .offset:         72
        .size:           8
        .value_kind:     global_buffer
      - .actual_access:  read_only
        .address_space:  global
        .offset:         80
        .size:           8
        .value_kind:     global_buffer
      - .actual_access:  read_only
        .address_space:  global
        .offset:         88
        .size:           8
        .value_kind:     global_buffer
      - .actual_access:  write_only
        .address_space:  global
        .offset:         96
        .size:           8
        .value_kind:     global_buffer
    .group_segment_fixed_size: 0
    .kernarg_segment_align: 8
    .kernarg_segment_size: 104
    .language:       OpenCL C
    .language_version:
      - 2
      - 0
    .max_flat_workgroup_size: 52
    .name:           fft_rtc_fwd_len468_factors_13_9_4_wgs_52_tpt_52_sp_op_CI_CI_unitstride_sbrr_C2R_dirReg
    .private_segment_fixed_size: 0
    .sgpr_count:     48
    .sgpr_spill_count: 0
    .symbol:         fft_rtc_fwd_len468_factors_13_9_4_wgs_52_tpt_52_sp_op_CI_CI_unitstride_sbrr_C2R_dirReg.kd
    .uniform_work_group_size: 1
    .uses_dynamic_stack: false
    .vgpr_count:     142
    .vgpr_spill_count: 0
    .wavefront_size: 64
amdhsa.target:   amdgcn-amd-amdhsa--gfx950
amdhsa.version:
  - 1
  - 2
...

	.end_amdgpu_metadata
